;; amdgpu-corpus repo=ROCm/rocFFT kind=compiled arch=gfx906 opt=O3
	.text
	.amdgcn_target "amdgcn-amd-amdhsa--gfx906"
	.amdhsa_code_object_version 6
	.protected	fft_rtc_back_len100_factors_10_10_wgs_200_tpt_10_halfLds_dim1_sp_op_CI_CI_unitstride_sbrr_R2C_dirReg ; -- Begin function fft_rtc_back_len100_factors_10_10_wgs_200_tpt_10_halfLds_dim1_sp_op_CI_CI_unitstride_sbrr_R2C_dirReg
	.globl	fft_rtc_back_len100_factors_10_10_wgs_200_tpt_10_halfLds_dim1_sp_op_CI_CI_unitstride_sbrr_R2C_dirReg
	.p2align	8
	.type	fft_rtc_back_len100_factors_10_10_wgs_200_tpt_10_halfLds_dim1_sp_op_CI_CI_unitstride_sbrr_R2C_dirReg,@function
fft_rtc_back_len100_factors_10_10_wgs_200_tpt_10_halfLds_dim1_sp_op_CI_CI_unitstride_sbrr_R2C_dirReg: ; @fft_rtc_back_len100_factors_10_10_wgs_200_tpt_10_halfLds_dim1_sp_op_CI_CI_unitstride_sbrr_R2C_dirReg
; %bb.0:
	v_mul_u32_u24_e32 v1, 0x199a, v0
	v_lshrrev_b32_e32 v2, 16, v1
	v_mad_u64_u32 v[3:4], s[0:1], s6, 20, v[2:3]
	s_mov_b32 s0, 0xcccccccd
	v_mov_b32_e32 v4, 0
	v_mul_hi_u32 v1, v3, s0
	s_load_dwordx2 s[6:7], s[4:5], 0x0
	s_load_dwordx2 s[0:1], s[4:5], 0x20
	s_movk_i32 s2, 0x199a
                                        ; implicit-def: $vgpr6
                                        ; implicit-def: $vgpr5
	v_lshrrev_b32_e32 v1, 4, v1
	v_mul_lo_u32 v1, v1, 20
	s_waitcnt lgkmcnt(0)
	v_cmp_gt_u64_e32 vcc, s[0:1], v[3:4]
	v_cmp_le_u64_e64 s[0:1], s[0:1], v[3:4]
	v_sub_u32_e32 v4, v3, v1
                                        ; implicit-def: $vgpr1
	s_and_saveexec_b64 s[8:9], s[0:1]
	s_xor_b64 s[0:1], exec, s[8:9]
; %bb.1:
	v_mul_u32_u24_sdwa v1, v0, s2 dst_sel:DWORD dst_unused:UNUSED_PAD src0_sel:WORD_0 src1_sel:DWORD
	v_mov_b32_e32 v2, 10
	v_mul_lo_u16_sdwa v1, v1, v2 dst_sel:DWORD dst_unused:UNUSED_PAD src0_sel:WORD_1 src1_sel:DWORD
	v_sub_u16_e32 v6, v0, v1
	v_sub_u16_e32 v1, v0, v1
	v_or_b32_e32 v5, 0x50, v1
                                        ; implicit-def: $vgpr2
                                        ; implicit-def: $vgpr0
; %bb.2:
	s_or_saveexec_b64 s[2:3], s[0:1]
	s_load_dwordx2 s[8:9], s[4:5], 0x18
	v_mul_u32_u24_e32 v4, 0x65, v4
	v_lshlrev_b32_e32 v8, 3, v4
                                        ; implicit-def: $vgpr4
	s_xor_b64 exec, exec, s[2:3]
	s_cbranch_execz .LBB0_4
; %bb.3:
	s_load_dwordx2 s[0:1], s[4:5], 0x10
	s_load_dwordx2 s[10:11], s[4:5], 0x50
	v_mul_lo_u16_e32 v2, 10, v2
	s_waitcnt lgkmcnt(0)
	s_load_dwordx2 s[0:1], s[0:1], 0x8
	s_waitcnt lgkmcnt(0)
	v_mad_u64_u32 v[4:5], s[12:13], s0, v3, 0
	v_mov_b32_e32 v1, v5
	v_mad_u64_u32 v[5:6], s[0:1], s1, v3, v[1:2]
	v_sub_u16_e32 v1, v0, v2
	v_mov_b32_e32 v6, s11
	v_lshlrev_b64 v[4:5], 3, v[4:5]
	v_lshlrev_b32_e32 v7, 3, v1
	v_add_co_u32_e64 v4, s[0:1], s10, v4
	v_addc_co_u32_e64 v5, s[0:1], v6, v5, s[0:1]
	v_add_co_u32_e64 v4, s[0:1], v4, v7
	v_addc_co_u32_e64 v5, s[0:1], 0, v5, s[0:1]
	global_load_dwordx2 v[9:10], v[4:5], off
	global_load_dwordx2 v[11:12], v[4:5], off offset:80
	global_load_dwordx2 v[13:14], v[4:5], off offset:160
	;; [unrolled: 1-line block ×9, first 2 shown]
	v_sub_u16_e32 v6, v0, v2
	v_or_b32_e32 v5, 0x50, v1
	v_add3_u32 v0, 0, v8, v7
	v_mov_b32_e32 v4, v1
	s_waitcnt vmcnt(8)
	ds_write2_b64 v0, v[9:10], v[11:12] offset1:10
	s_waitcnt vmcnt(6)
	ds_write2_b64 v0, v[13:14], v[15:16] offset0:20 offset1:30
	s_waitcnt vmcnt(4)
	ds_write2_b64 v0, v[17:18], v[19:20] offset0:40 offset1:50
	;; [unrolled: 2-line block ×4, first 2 shown]
.LBB0_4:
	s_or_b64 exec, exec, s[2:3]
	v_lshlrev_b32_e32 v2, 3, v1
	v_add3_u32 v7, 0, v2, v8
	s_waitcnt lgkmcnt(0)
	s_load_dwordx2 s[2:3], s[8:9], 0x8
	s_waitcnt lgkmcnt(0)
	s_barrier
	ds_read2_b64 v[10:13], v7 offset0:50 offset1:60
	ds_read2_b64 v[14:17], v7 offset0:70 offset1:80
	;; [unrolled: 1-line block ×4, first 2 shown]
	v_add_u32_e32 v0, 0, v8
	ds_read_b64 v[26:27], v7 offset:720
	v_add_u32_e32 v9, v0, v2
	ds_read_b64 v[28:29], v9
	s_waitcnt lgkmcnt(4)
	v_add_f32_e32 v8, v10, v14
	v_add_f32_e32 v31, v11, v15
	s_waitcnt lgkmcnt(1)
	v_add_f32_e32 v30, v22, v26
	v_add_f32_e32 v32, v23, v27
	v_fma_f32 v8, -0.5, v8, v18
	v_fma_f32 v30, -0.5, v30, v18
	v_fma_f32 v31, -0.5, v31, v19
	v_fma_f32 v32, -0.5, v32, v19
	v_add_f32_e32 v18, v18, v22
	v_add_f32_e32 v19, v19, v23
	s_waitcnt lgkmcnt(0)
	v_add_f32_e32 v33, v28, v20
	v_add_f32_e32 v38, v29, v21
	;; [unrolled: 1-line block ×6, first 2 shown]
	v_sub_f32_e32 v43, v23, v27
	v_sub_f32_e32 v44, v22, v10
	;; [unrolled: 1-line block ×7, first 2 shown]
	v_add_f32_e32 v10, v18, v14
	v_add_f32_e32 v11, v19, v15
	v_sub_f32_e32 v34, v21, v17
	v_sub_f32_e32 v35, v20, v24
	;; [unrolled: 1-line block ×4, first 2 shown]
	v_add_f32_e32 v40, v21, v17
	v_sub_f32_e32 v21, v25, v21
	v_add_f32_e32 v41, v24, v12
	v_sub_f32_e32 v42, v25, v13
	;; [unrolled: 2-line block ×3, first 2 shown]
	v_sub_f32_e32 v22, v22, v26
	v_add_f32_e32 v33, v33, v12
	v_add_f32_e32 v38, v38, v13
	v_sub_f32_e32 v47, v16, v12
	v_sub_f32_e32 v48, v12, v16
	;; [unrolled: 1-line block ×6, first 2 shown]
	v_add_f32_e32 v19, v10, v26
	v_add_f32_e32 v26, v11, v27
	v_mov_b32_e32 v10, v8
	v_mov_b32_e32 v11, v31
	v_sub_f32_e32 v18, v27, v15
	v_fmac_f32_e32 v10, 0xbf737871, v43
	v_fmac_f32_e32 v11, 0x3f737871, v22
	v_fma_f32 v41, -0.5, v41, v28
	v_fma_f32 v25, -0.5, v25, v29
	v_add_f32_e32 v36, v20, v16
	v_sub_f32_e32 v20, v20, v16
	v_sub_f32_e32 v15, v15, v27
	v_add_f32_e32 v27, v35, v47
	v_add_f32_e32 v35, v44, v13
	v_add_f32_e32 v18, v46, v18
	v_fmac_f32_e32 v10, 0xbf167918, v50
	v_fmac_f32_e32 v11, 0x3f167918, v51
	v_mov_b32_e32 v44, v41
	v_mov_b32_e32 v46, v25
	v_fmac_f32_e32 v10, 0x3e9e377a, v35
	v_fmac_f32_e32 v11, 0x3e9e377a, v18
	;; [unrolled: 1-line block ×4, first 2 shown]
	v_add_f32_e32 v16, v33, v16
	v_add_f32_e32 v17, v38, v17
	;; [unrolled: 1-line block ×3, first 2 shown]
	v_mul_f32_e32 v38, 0xbf167918, v11
	v_mul_f32_e32 v39, 0x3f167918, v10
	v_fmac_f32_e32 v44, 0xbf167918, v42
	v_fmac_f32_e32 v46, 0x3f167918, v24
	v_fma_f32 v28, -0.5, v36, v28
	v_fmac_f32_e32 v38, 0x3f4f1bbd, v10
	v_fmac_f32_e32 v39, 0x3f4f1bbd, v11
	;; [unrolled: 1-line block ×4, first 2 shown]
	s_movk_i32 s0, 0x48
	v_mov_b32_e32 v36, v28
	v_add_f32_e32 v10, v16, v19
	v_add_f32_e32 v11, v17, v26
	;; [unrolled: 1-line block ×4, first 2 shown]
	v_mad_u32_u24 v47, v1, s0, v7
	v_fmac_f32_e32 v36, 0x3f737871, v42
	v_fmac_f32_e32 v28, 0xbf737871, v42
	s_barrier
	ds_write2_b64 v47, v[10:11], v[12:13] offset1:1
	v_add_f32_e32 v10, v37, v48
	v_fmac_f32_e32 v36, 0xbf167918, v34
	v_fmac_f32_e32 v28, 0x3f167918, v34
	v_fmac_f32_e32 v29, -0.5, v40
	v_fmac_f32_e32 v36, 0x3e9e377a, v10
	v_fmac_f32_e32 v28, 0x3e9e377a, v10
	v_add_f32_e32 v10, v21, v49
	v_mov_b32_e32 v21, v29
	v_fmac_f32_e32 v21, 0xbf737871, v24
	v_fmac_f32_e32 v29, 0x3f737871, v24
	v_mov_b32_e32 v11, v30
	v_fmac_f32_e32 v21, 0x3f167918, v20
	v_fmac_f32_e32 v29, 0xbf167918, v20
	;; [unrolled: 1-line block ×4, first 2 shown]
	v_mov_b32_e32 v12, v32
	v_fmac_f32_e32 v21, 0x3e9e377a, v10
	v_fmac_f32_e32 v29, 0x3e9e377a, v10
	v_add_f32_e32 v10, v45, v14
	v_fmac_f32_e32 v11, 0xbf167918, v43
	v_fmac_f32_e32 v30, 0x3f167918, v43
	;; [unrolled: 1-line block ×6, first 2 shown]
	v_add_f32_e32 v10, v23, v15
	v_fmac_f32_e32 v12, 0x3f167918, v22
	v_fmac_f32_e32 v32, 0xbf167918, v22
	;; [unrolled: 1-line block ×4, first 2 shown]
	v_mul_f32_e32 v14, 0xbf737871, v12
	v_mul_f32_e32 v15, 0x3e9e377a, v12
	;; [unrolled: 1-line block ×4, first 2 shown]
	v_fmac_f32_e32 v31, 0xbf737871, v22
	v_fmac_f32_e32 v14, 0x3e9e377a, v11
	;; [unrolled: 1-line block ×7, first 2 shown]
	v_add_f32_e32 v10, v36, v14
	v_add_f32_e32 v11, v21, v15
	;; [unrolled: 1-line block ×4, first 2 shown]
	v_fmac_f32_e32 v41, 0x3f737871, v34
	v_fmac_f32_e32 v25, 0xbf737871, v20
	;; [unrolled: 1-line block ×4, first 2 shown]
	ds_write2_b64 v47, v[10:11], v[12:13] offset0:2 offset1:3
	v_sub_f32_e32 v10, v16, v19
	v_sub_f32_e32 v11, v17, v26
	v_fmac_f32_e32 v41, 0x3f167918, v42
	v_fmac_f32_e32 v25, 0xbf167918, v24
	;; [unrolled: 1-line block ×3, first 2 shown]
	v_mul_f32_e32 v16, 0xbf167918, v31
	v_mul_f32_e32 v17, 0xbf4f1bbd, v31
	v_fmac_f32_e32 v41, 0x3e9e377a, v27
	v_fmac_f32_e32 v25, 0x3e9e377a, v33
	;; [unrolled: 1-line block ×4, first 2 shown]
	v_add_f32_e32 v12, v41, v16
	v_add_f32_e32 v13, v25, v17
	v_mul_u32_u24_e32 v8, 9, v1
	ds_write2_b64 v47, v[12:13], v[10:11] offset0:4 offset1:5
	v_sub_f32_e32 v11, v29, v32
	v_sub_f32_e32 v10, v28, v23
	;; [unrolled: 1-line block ×8, first 2 shown]
	v_lshlrev_b32_e32 v8, 3, v8
	ds_write2_b64 v47, v[12:13], v[14:15] offset0:6 offset1:7
	ds_write2_b64 v47, v[10:11], v[16:17] offset0:8 offset1:9
	s_waitcnt lgkmcnt(0)
	s_barrier
	global_load_dwordx4 v[10:13], v8, s[6:7]
	global_load_dwordx4 v[14:17], v8, s[6:7] offset:16
	global_load_dwordx4 v[18:21], v8, s[6:7] offset:32
	;; [unrolled: 1-line block ×3, first 2 shown]
	global_load_dwordx2 v[34:35], v8, s[6:7] offset:64
	ds_read2_b64 v[26:29], v7 offset0:10 offset1:20
	ds_read2_b64 v[30:33], v7 offset0:30 offset1:40
	v_lshl_add_u32 v5, v5, 3, v0
	v_cmp_ne_u16_e64 s[0:1], 0, v6
	s_waitcnt vmcnt(4) lgkmcnt(1)
	v_mul_f32_e32 v8, v11, v27
	v_mul_f32_e32 v11, v11, v26
	v_fmac_f32_e32 v8, v10, v26
	v_fma_f32 v26, v10, v27, -v11
	v_mul_f32_e32 v27, v13, v29
	v_mul_f32_e32 v10, v13, v28
	v_fmac_f32_e32 v27, v12, v28
	v_fma_f32 v28, v12, v29, -v10
	s_waitcnt vmcnt(3) lgkmcnt(0)
	v_mul_f32_e32 v29, v15, v31
	v_mul_f32_e32 v10, v15, v30
	v_fmac_f32_e32 v29, v14, v30
	v_fma_f32 v30, v14, v31, -v10
	ds_read2_b64 v[10:13], v7 offset0:50 offset1:60
	v_mul_f32_e32 v31, v17, v33
	v_mul_f32_e32 v14, v17, v32
	v_fmac_f32_e32 v31, v16, v32
	v_fma_f32 v32, v16, v33, -v14
	ds_read2_b64 v[14:17], v7 offset0:70 offset1:80
	s_waitcnt vmcnt(2) lgkmcnt(1)
	v_mul_f32_e32 v33, v19, v11
	v_fmac_f32_e32 v33, v18, v10
	v_mul_f32_e32 v10, v19, v10
	v_fma_f32 v18, v18, v11, -v10
	v_mul_f32_e32 v19, v13, v21
	v_mul_f32_e32 v10, v12, v21
	v_fmac_f32_e32 v19, v12, v20
	v_fma_f32 v20, v13, v20, -v10
	s_waitcnt vmcnt(1) lgkmcnt(0)
	v_mul_f32_e32 v21, v15, v23
	v_mul_f32_e32 v10, v14, v23
	v_fmac_f32_e32 v21, v14, v22
	v_fma_f32 v22, v15, v22, -v10
	ds_read_b64 v[10:11], v7 offset:720
	v_mul_f32_e32 v23, v17, v25
	v_mul_f32_e32 v12, v16, v25
	v_fmac_f32_e32 v23, v16, v24
	v_fma_f32 v16, v17, v24, -v12
	ds_read_b64 v[12:13], v9
	s_waitcnt vmcnt(0) lgkmcnt(1)
	v_mul_f32_e32 v17, v11, v35
	v_fmac_f32_e32 v17, v10, v34
	v_mul_f32_e32 v10, v10, v35
	v_fma_f32 v24, v11, v34, -v10
	v_sub_f32_e32 v10, v27, v31
	v_sub_f32_e32 v11, v23, v19
	v_add_f32_e32 v25, v10, v11
	v_sub_f32_e32 v10, v28, v32
	v_sub_f32_e32 v11, v16, v20
	v_add_f32_e32 v34, v10, v11
	;; [unrolled: 3-line block ×4, first 2 shown]
	v_add_f32_e32 v11, v18, v22
	v_add_f32_e32 v10, v33, v21
	v_fma_f32 v40, -0.5, v11, v26
	v_fma_f32 v37, -0.5, v10, v8
	v_sub_f32_e32 v41, v29, v17
	v_mov_b32_e32 v11, v40
	v_sub_f32_e32 v38, v30, v24
	v_mov_b32_e32 v10, v37
	v_fmac_f32_e32 v11, 0x3f737871, v41
	v_sub_f32_e32 v42, v33, v21
	v_fmac_f32_e32 v10, 0xbf737871, v38
	v_sub_f32_e32 v39, v18, v22
	v_fmac_f32_e32 v11, 0x3f167918, v42
	v_fmac_f32_e32 v10, 0xbf167918, v39
	;; [unrolled: 1-line block ×4, first 2 shown]
	v_mul_f32_e32 v43, 0xbf167918, v11
	v_mul_f32_e32 v44, 0x3f4f1bbd, v11
	v_fmac_f32_e32 v43, 0x3f4f1bbd, v10
	v_fmac_f32_e32 v44, 0x3f167918, v10
	s_waitcnt lgkmcnt(0)
	v_add_f32_e32 v10, v12, v27
	v_add_f32_e32 v10, v10, v31
	;; [unrolled: 1-line block ×5, first 2 shown]
	v_fma_f32 v46, -0.5, v10, v12
	v_add_f32_e32 v10, v13, v28
	v_add_f32_e32 v10, v10, v32
	;; [unrolled: 1-line block ×5, first 2 shown]
	v_fma_f32 v51, -0.5, v10, v13
	v_add_f32_e32 v10, v8, v29
	v_add_f32_e32 v10, v10, v33
	;; [unrolled: 1-line block ×3, first 2 shown]
	v_sub_f32_e32 v47, v28, v16
	v_mov_b32_e32 v48, v46
	v_sub_f32_e32 v52, v27, v23
	v_mov_b32_e32 v53, v51
	v_add_f32_e32 v55, v10, v17
	v_add_f32_e32 v10, v26, v30
	v_fmac_f32_e32 v48, 0xbf737871, v47
	v_sub_f32_e32 v49, v32, v20
	v_fmac_f32_e32 v53, 0x3f737871, v52
	v_sub_f32_e32 v54, v31, v19
	v_add_f32_e32 v10, v10, v18
	v_fmac_f32_e32 v48, 0xbf167918, v49
	v_fmac_f32_e32 v53, 0x3f167918, v54
	v_add_f32_e32 v10, v10, v22
	v_fmac_f32_e32 v48, 0x3e9e377a, v25
	v_fmac_f32_e32 v53, 0x3e9e377a, v34
	v_add_f32_e32 v56, v10, v24
	v_add_f32_e32 v10, v45, v55
	;; [unrolled: 1-line block ×5, first 2 shown]
	s_barrier
	ds_write2_b64 v7, v[10:11], v[14:15] offset1:10
	v_add_f32_e32 v11, v27, v23
	v_fma_f32 v12, -0.5, v11, v12
	v_sub_f32_e32 v14, v19, v23
	v_mov_b32_e32 v19, v12
	v_sub_f32_e32 v10, v31, v27
	v_fmac_f32_e32 v19, 0x3f737871, v49
	v_fmac_f32_e32 v12, 0xbf737871, v49
	v_add_f32_e32 v10, v10, v14
	v_fmac_f32_e32 v19, 0xbf167918, v47
	v_fmac_f32_e32 v12, 0x3f167918, v47
	;; [unrolled: 1-line block ×4, first 2 shown]
	v_add_f32_e32 v10, v28, v16
	v_fmac_f32_e32 v13, -0.5, v10
	v_sub_f32_e32 v11, v20, v16
	v_mov_b32_e32 v20, v13
	v_sub_f32_e32 v10, v32, v28
	v_fmac_f32_e32 v20, 0xbf737871, v54
	v_fmac_f32_e32 v13, 0x3f737871, v54
	v_add_f32_e32 v10, v10, v11
	v_fmac_f32_e32 v20, 0x3f167918, v52
	v_fmac_f32_e32 v13, 0xbf167918, v52
	;; [unrolled: 1-line block ×4, first 2 shown]
	v_add_f32_e32 v10, v29, v17
	v_fmac_f32_e32 v8, -0.5, v10
	v_sub_f32_e32 v10, v33, v29
	v_sub_f32_e32 v11, v21, v17
	v_add_f32_e32 v10, v10, v11
	v_mov_b32_e32 v11, v8
	v_fmac_f32_e32 v11, 0x3f737871, v39
	v_fmac_f32_e32 v8, 0xbf737871, v39
	;; [unrolled: 1-line block ×6, first 2 shown]
	v_add_f32_e32 v10, v30, v24
	v_fmac_f32_e32 v26, -0.5, v10
	v_sub_f32_e32 v10, v18, v30
	v_sub_f32_e32 v14, v22, v24
	v_add_f32_e32 v10, v10, v14
	v_mov_b32_e32 v14, v26
	v_fmac_f32_e32 v14, 0xbf737871, v42
	v_fmac_f32_e32 v26, 0x3f737871, v42
	;; [unrolled: 1-line block ×6, first 2 shown]
	v_mul_f32_e32 v16, 0xbf737871, v14
	v_mul_f32_e32 v17, 0x3e9e377a, v14
	;; [unrolled: 1-line block ×4, first 2 shown]
	v_fmac_f32_e32 v40, 0xbf737871, v41
	v_fmac_f32_e32 v16, 0x3e9e377a, v11
	;; [unrolled: 1-line block ×7, first 2 shown]
	v_add_f32_e32 v10, v19, v16
	v_add_f32_e32 v11, v20, v17
	;; [unrolled: 1-line block ×4, first 2 shown]
	v_fmac_f32_e32 v46, 0x3f737871, v47
	v_fmac_f32_e32 v51, 0xbf737871, v52
	;; [unrolled: 1-line block ×4, first 2 shown]
	ds_write2_b64 v7, v[10:11], v[14:15] offset0:20 offset1:30
	v_sub_f32_e32 v11, v13, v21
	v_fmac_f32_e32 v46, 0x3f167918, v49
	v_fmac_f32_e32 v51, 0xbf167918, v54
	;; [unrolled: 1-line block ×3, first 2 shown]
	v_mul_f32_e32 v8, 0xbf167918, v40
	v_mul_f32_e32 v21, 0xbf4f1bbd, v40
	v_fmac_f32_e32 v46, 0x3e9e377a, v25
	v_fmac_f32_e32 v51, 0x3e9e377a, v34
	;; [unrolled: 1-line block ×4, first 2 shown]
	v_sub_f32_e32 v10, v12, v18
	v_sub_f32_e32 v12, v45, v55
	;; [unrolled: 1-line block ×4, first 2 shown]
	v_add_f32_e32 v18, v46, v8
	v_add_f32_e32 v19, v51, v21
	v_sub_f32_e32 v14, v48, v43
	v_sub_f32_e32 v15, v53, v44
	;; [unrolled: 1-line block ×5, first 2 shown]
	ds_write2_b64 v7, v[18:19], v[12:13] offset0:40 offset1:50
	ds_write2_b64 v7, v[14:15], v[16:17] offset0:60 offset1:70
	ds_write_b64 v5, v[10:11]
	ds_write_b64 v7, v[20:21] offset:720
	s_waitcnt lgkmcnt(0)
	s_barrier
	ds_read_b64 v[7:8], v9
	v_sub_u32_e32 v10, v0, v2
                                        ; implicit-def: $vgpr5
                                        ; implicit-def: $vgpr11
                                        ; implicit-def: $vgpr12
	s_and_saveexec_b64 s[8:9], s[0:1]
	s_xor_b64 s[0:1], exec, s[8:9]
	s_cbranch_execz .LBB0_6
; %bb.5:
	v_mov_b32_e32 v2, 3
	v_lshlrev_b32_sdwa v2, v2, v6 dst_sel:DWORD dst_unused:UNUSED_PAD src0_sel:DWORD src1_sel:WORD_0
	global_load_dwordx2 v[13:14], v2, s[6:7] offset:720
	ds_read_b64 v[5:6], v10 offset:800
	s_waitcnt lgkmcnt(0)
	v_add_f32_e32 v2, v5, v7
	v_sub_f32_e32 v5, v7, v5
	v_add_f32_e32 v11, v6, v8
	v_sub_f32_e32 v6, v8, v6
	v_mul_f32_e32 v8, 0.5, v5
	v_mul_f32_e32 v7, 0.5, v11
	;; [unrolled: 1-line block ×3, first 2 shown]
	s_waitcnt vmcnt(0)
	v_mul_f32_e32 v6, v14, v8
	v_fma_f32 v12, v7, v14, v5
	v_fma_f32 v14, v7, v14, -v5
	v_fma_f32 v11, 0.5, v2, v6
	v_fma_f32 v2, v2, 0.5, -v6
	v_fma_f32 v12, -v13, v8, v12
	v_fmac_f32_e32 v11, v13, v7
	v_fma_f32 v5, -v13, v7, v2
	v_fma_f32 v6, -v13, v8, v14
                                        ; implicit-def: $vgpr7_vgpr8
.LBB0_6:
	s_andn2_saveexec_b64 s[0:1], s[0:1]
	s_cbranch_execz .LBB0_8
; %bb.7:
	ds_read_b32 v2, v0 offset:404
	s_waitcnt lgkmcnt(1)
	v_add_f32_e32 v11, v7, v8
	v_sub_f32_e32 v5, v7, v8
	v_mov_b32_e32 v12, 0
	v_mov_b32_e32 v6, 0
	s_waitcnt lgkmcnt(0)
	v_xor_b32_e32 v2, 0x80000000, v2
	ds_write_b32 v0, v2 offset:404
.LBB0_8:
	s_or_b64 exec, exec, s[0:1]
	v_mov_b32_e32 v2, 0
	s_add_u32 s0, s6, 0x2d0
	s_waitcnt lgkmcnt(0)
	v_lshlrev_b64 v[7:8], 3, v[1:2]
	s_addc_u32 s1, s7, 0
	v_mov_b32_e32 v1, s1
	v_add_co_u32_e64 v7, s[0:1], s0, v7
	v_addc_co_u32_e64 v8, s[0:1], v1, v8, s[0:1]
	global_load_dwordx2 v[13:14], v[7:8], off offset:80
	global_load_dwordx2 v[15:16], v[7:8], off offset:160
	global_load_dwordx2 v[17:18], v[7:8], off offset:240
	ds_write2_b32 v9, v11, v12 offset1:1
	ds_write_b64 v10, v[5:6] offset:800
	ds_read_b64 v[5:6], v9 offset:80
	ds_read_b64 v[11:12], v10 offset:720
	global_load_dwordx2 v[7:8], v[7:8], off offset:320
	s_waitcnt lgkmcnt(0)
	v_add_f32_e32 v1, v5, v11
	v_sub_f32_e32 v5, v5, v11
	v_add_f32_e32 v19, v6, v12
	v_sub_f32_e32 v6, v6, v12
	v_mul_f32_e32 v5, 0.5, v5
	v_mul_f32_e32 v11, 0.5, v19
	v_mul_f32_e32 v6, 0.5, v6
	s_waitcnt vmcnt(3)
	v_mul_f32_e32 v12, v14, v5
	v_fma_f32 v19, v11, v14, v6
	v_fma_f32 v6, v11, v14, -v6
	v_fma_f32 v14, 0.5, v1, v12
	v_fma_f32 v19, -v13, v5, v19
	v_fma_f32 v1, v1, 0.5, -v12
	v_fmac_f32_e32 v14, v13, v11
	v_fma_f32 v6, -v13, v5, v6
	v_fma_f32 v5, -v13, v11, v1
	ds_write2_b32 v9, v14, v19 offset0:20 offset1:21
	ds_write_b64 v10, v[5:6] offset:720
	ds_read_b64 v[5:6], v9 offset:160
	ds_read_b64 v[11:12], v10 offset:640
	s_waitcnt lgkmcnt(0)
	v_add_f32_e32 v1, v5, v11
	v_sub_f32_e32 v5, v5, v11
	v_add_f32_e32 v13, v6, v12
	v_sub_f32_e32 v6, v6, v12
	v_mul_f32_e32 v5, 0.5, v5
	v_mul_f32_e32 v11, 0.5, v13
	v_mul_f32_e32 v6, 0.5, v6
	s_waitcnt vmcnt(2)
	v_mul_f32_e32 v12, v16, v5
	v_fma_f32 v13, v11, v16, v6
	v_fma_f32 v14, 0.5, v1, v12
	v_fma_f32 v6, v11, v16, -v6
	v_fma_f32 v13, -v15, v5, v13
	v_fma_f32 v1, v1, 0.5, -v12
	v_fmac_f32_e32 v14, v15, v11
	v_fma_f32 v6, -v15, v5, v6
	v_fma_f32 v5, -v15, v11, v1
	ds_write2_b32 v9, v14, v13 offset0:40 offset1:41
	ds_write_b64 v10, v[5:6] offset:640
	ds_read_b64 v[5:6], v9 offset:240
	ds_read_b64 v[11:12], v10 offset:560
	s_waitcnt lgkmcnt(0)
	v_add_f32_e32 v1, v5, v11
	v_sub_f32_e32 v5, v5, v11
	v_add_f32_e32 v13, v6, v12
	v_sub_f32_e32 v6, v6, v12
	v_mul_f32_e32 v5, 0.5, v5
	v_mul_f32_e32 v11, 0.5, v13
	;; [unrolled: 1-line block ×3, first 2 shown]
	s_waitcnt vmcnt(1)
	v_mul_f32_e32 v12, v18, v5
	v_fma_f32 v13, v11, v18, v6
	v_fma_f32 v14, 0.5, v1, v12
	v_fma_f32 v6, v11, v18, -v6
	v_fma_f32 v13, -v17, v5, v13
	v_fma_f32 v1, v1, 0.5, -v12
	v_fmac_f32_e32 v14, v17, v11
	v_fma_f32 v6, -v17, v5, v6
	v_fma_f32 v5, -v17, v11, v1
	ds_write2_b32 v9, v14, v13 offset0:60 offset1:61
	ds_write_b64 v10, v[5:6] offset:560
	ds_read_b64 v[5:6], v9 offset:320
	ds_read_b64 v[11:12], v10 offset:480
	s_waitcnt lgkmcnt(0)
	v_add_f32_e32 v1, v5, v11
	v_sub_f32_e32 v5, v5, v11
	v_add_f32_e32 v13, v6, v12
	v_sub_f32_e32 v6, v6, v12
	v_mul_f32_e32 v5, 0.5, v5
	v_mul_f32_e32 v11, 0.5, v13
	;; [unrolled: 1-line block ×3, first 2 shown]
	s_waitcnt vmcnt(0)
	v_mul_f32_e32 v12, v8, v5
	v_fma_f32 v13, v11, v8, v6
	v_fma_f32 v6, v11, v8, -v6
	v_fma_f32 v8, 0.5, v1, v12
	v_fma_f32 v13, -v7, v5, v13
	v_fma_f32 v1, v1, 0.5, -v12
	v_fmac_f32_e32 v8, v7, v11
	v_fma_f32 v6, -v7, v5, v6
	v_fma_f32 v5, -v7, v11, v1
	ds_write2_b32 v9, v8, v13 offset0:80 offset1:81
	ds_write_b64 v10, v[5:6] offset:480
	s_waitcnt lgkmcnt(0)
	s_barrier
	s_and_saveexec_b64 s[0:1], vcc
	s_cbranch_execz .LBB0_11
; %bb.9:
	v_mad_u64_u32 v[6:7], s[0:1], s2, v3, 0
	s_load_dwordx2 s[0:1], s[4:5], 0x58
	v_lshl_add_u32 v0, v4, 3, v0
	v_mov_b32_e32 v1, v7
	v_mad_u64_u32 v[7:8], s[2:3], s3, v3, v[1:2]
	v_mov_b32_e32 v5, v2
	ds_read2_b64 v[8:11], v0 offset1:10
	v_lshlrev_b64 v[6:7], 3, v[6:7]
	s_waitcnt lgkmcnt(0)
	v_mov_b32_e32 v1, s1
	v_add_co_u32_e32 v6, vcc, s0, v6
	v_lshlrev_b64 v[12:13], 3, v[4:5]
	v_addc_co_u32_e32 v7, vcc, v1, v7, vcc
	v_add_co_u32_e32 v12, vcc, v6, v12
	v_addc_co_u32_e32 v13, vcc, v7, v13, vcc
	v_add_u32_e32 v1, 10, v4
	global_store_dwordx2 v[12:13], v[8:9], off
	v_lshlrev_b64 v[8:9], 3, v[1:2]
	v_add_u32_e32 v1, 20, v4
	v_add_co_u32_e32 v8, vcc, v6, v8
	v_addc_co_u32_e32 v9, vcc, v7, v9, vcc
	global_store_dwordx2 v[8:9], v[10:11], off
	ds_read2_b64 v[8:11], v0 offset0:20 offset1:30
	v_lshlrev_b64 v[12:13], 3, v[1:2]
	v_add_u32_e32 v1, 30, v4
	v_add_co_u32_e32 v12, vcc, v6, v12
	v_addc_co_u32_e32 v13, vcc, v7, v13, vcc
	s_waitcnt lgkmcnt(0)
	global_store_dwordx2 v[12:13], v[8:9], off
	v_lshlrev_b64 v[8:9], 3, v[1:2]
	v_add_u32_e32 v1, 40, v4
	v_add_co_u32_e32 v8, vcc, v6, v8
	v_addc_co_u32_e32 v9, vcc, v7, v9, vcc
	global_store_dwordx2 v[8:9], v[10:11], off
	ds_read2_b64 v[8:11], v0 offset0:40 offset1:50
	v_lshlrev_b64 v[12:13], 3, v[1:2]
	v_add_u32_e32 v1, 50, v4
	v_add_co_u32_e32 v12, vcc, v6, v12
	v_addc_co_u32_e32 v13, vcc, v7, v13, vcc
	s_waitcnt lgkmcnt(0)
	;; [unrolled: 12-line block ×3, first 2 shown]
	global_store_dwordx2 v[12:13], v[8:9], off
	v_lshlrev_b64 v[8:9], 3, v[1:2]
	v_add_u32_e32 v1, 0x50, v4
	v_add_co_u32_e32 v8, vcc, v6, v8
	v_lshlrev_b64 v[12:13], 3, v[1:2]
	v_addc_co_u32_e32 v9, vcc, v7, v9, vcc
	v_add_u32_e32 v1, 0x5a, v4
	global_store_dwordx2 v[8:9], v[10:11], off
	ds_read2_b64 v[8:11], v0 offset0:80 offset1:90
	v_add_co_u32_e32 v12, vcc, v6, v12
	v_lshlrev_b64 v[1:2], 3, v[1:2]
	v_addc_co_u32_e32 v13, vcc, v7, v13, vcc
	v_add_co_u32_e32 v1, vcc, v6, v1
	v_addc_co_u32_e32 v2, vcc, v7, v2, vcc
	v_cmp_eq_u32_e32 vcc, 9, v4
	s_waitcnt lgkmcnt(0)
	global_store_dwordx2 v[12:13], v[8:9], off
	global_store_dwordx2 v[1:2], v[10:11], off
	s_and_b64 exec, exec, vcc
	s_cbranch_execz .LBB0_11
; %bb.10:
	ds_read_b64 v[0:1], v0 offset:728
	s_waitcnt lgkmcnt(0)
	global_store_dwordx2 v[6:7], v[0:1], off offset:800
.LBB0_11:
	s_endpgm
	.section	.rodata,"a",@progbits
	.p2align	6, 0x0
	.amdhsa_kernel fft_rtc_back_len100_factors_10_10_wgs_200_tpt_10_halfLds_dim1_sp_op_CI_CI_unitstride_sbrr_R2C_dirReg
		.amdhsa_group_segment_fixed_size 0
		.amdhsa_private_segment_fixed_size 0
		.amdhsa_kernarg_size 96
		.amdhsa_user_sgpr_count 6
		.amdhsa_user_sgpr_private_segment_buffer 1
		.amdhsa_user_sgpr_dispatch_ptr 0
		.amdhsa_user_sgpr_queue_ptr 0
		.amdhsa_user_sgpr_kernarg_segment_ptr 1
		.amdhsa_user_sgpr_dispatch_id 0
		.amdhsa_user_sgpr_flat_scratch_init 0
		.amdhsa_user_sgpr_private_segment_size 0
		.amdhsa_uses_dynamic_stack 0
		.amdhsa_system_sgpr_private_segment_wavefront_offset 0
		.amdhsa_system_sgpr_workgroup_id_x 1
		.amdhsa_system_sgpr_workgroup_id_y 0
		.amdhsa_system_sgpr_workgroup_id_z 0
		.amdhsa_system_sgpr_workgroup_info 0
		.amdhsa_system_vgpr_workitem_id 0
		.amdhsa_next_free_vgpr 57
		.amdhsa_next_free_sgpr 14
		.amdhsa_reserve_vcc 1
		.amdhsa_reserve_flat_scratch 0
		.amdhsa_float_round_mode_32 0
		.amdhsa_float_round_mode_16_64 0
		.amdhsa_float_denorm_mode_32 3
		.amdhsa_float_denorm_mode_16_64 3
		.amdhsa_dx10_clamp 1
		.amdhsa_ieee_mode 1
		.amdhsa_fp16_overflow 0
		.amdhsa_exception_fp_ieee_invalid_op 0
		.amdhsa_exception_fp_denorm_src 0
		.amdhsa_exception_fp_ieee_div_zero 0
		.amdhsa_exception_fp_ieee_overflow 0
		.amdhsa_exception_fp_ieee_underflow 0
		.amdhsa_exception_fp_ieee_inexact 0
		.amdhsa_exception_int_div_zero 0
	.end_amdhsa_kernel
	.text
.Lfunc_end0:
	.size	fft_rtc_back_len100_factors_10_10_wgs_200_tpt_10_halfLds_dim1_sp_op_CI_CI_unitstride_sbrr_R2C_dirReg, .Lfunc_end0-fft_rtc_back_len100_factors_10_10_wgs_200_tpt_10_halfLds_dim1_sp_op_CI_CI_unitstride_sbrr_R2C_dirReg
                                        ; -- End function
	.section	.AMDGPU.csdata,"",@progbits
; Kernel info:
; codeLenInByte = 4088
; NumSgprs: 18
; NumVgprs: 57
; ScratchSize: 0
; MemoryBound: 0
; FloatMode: 240
; IeeeMode: 1
; LDSByteSize: 0 bytes/workgroup (compile time only)
; SGPRBlocks: 2
; VGPRBlocks: 14
; NumSGPRsForWavesPerEU: 18
; NumVGPRsForWavesPerEU: 57
; Occupancy: 4
; WaveLimiterHint : 1
; COMPUTE_PGM_RSRC2:SCRATCH_EN: 0
; COMPUTE_PGM_RSRC2:USER_SGPR: 6
; COMPUTE_PGM_RSRC2:TRAP_HANDLER: 0
; COMPUTE_PGM_RSRC2:TGID_X_EN: 1
; COMPUTE_PGM_RSRC2:TGID_Y_EN: 0
; COMPUTE_PGM_RSRC2:TGID_Z_EN: 0
; COMPUTE_PGM_RSRC2:TIDIG_COMP_CNT: 0
	.type	__hip_cuid_b51269825cbd2919,@object ; @__hip_cuid_b51269825cbd2919
	.section	.bss,"aw",@nobits
	.globl	__hip_cuid_b51269825cbd2919
__hip_cuid_b51269825cbd2919:
	.byte	0                               ; 0x0
	.size	__hip_cuid_b51269825cbd2919, 1

	.ident	"AMD clang version 19.0.0git (https://github.com/RadeonOpenCompute/llvm-project roc-6.4.0 25133 c7fe45cf4b819c5991fe208aaa96edf142730f1d)"
	.section	".note.GNU-stack","",@progbits
	.addrsig
	.addrsig_sym __hip_cuid_b51269825cbd2919
	.amdgpu_metadata
---
amdhsa.kernels:
  - .args:
      - .actual_access:  read_only
        .address_space:  global
        .offset:         0
        .size:           8
        .value_kind:     global_buffer
      - .actual_access:  read_only
        .address_space:  global
        .offset:         8
        .size:           8
        .value_kind:     global_buffer
      - .actual_access:  read_only
        .address_space:  global
        .offset:         16
        .size:           8
        .value_kind:     global_buffer
      - .actual_access:  read_only
        .address_space:  global
        .offset:         24
        .size:           8
        .value_kind:     global_buffer
      - .offset:         32
        .size:           8
        .value_kind:     by_value
      - .actual_access:  read_only
        .address_space:  global
        .offset:         40
        .size:           8
        .value_kind:     global_buffer
      - .actual_access:  read_only
        .address_space:  global
        .offset:         48
        .size:           8
        .value_kind:     global_buffer
      - .offset:         56
        .size:           4
        .value_kind:     by_value
      - .actual_access:  read_only
        .address_space:  global
        .offset:         64
        .size:           8
        .value_kind:     global_buffer
      - .actual_access:  read_only
        .address_space:  global
        .offset:         72
        .size:           8
        .value_kind:     global_buffer
      - .actual_access:  read_only
        .address_space:  global
        .offset:         80
        .size:           8
        .value_kind:     global_buffer
      - .actual_access:  write_only
        .address_space:  global
        .offset:         88
        .size:           8
        .value_kind:     global_buffer
    .group_segment_fixed_size: 0
    .kernarg_segment_align: 8
    .kernarg_segment_size: 96
    .language:       OpenCL C
    .language_version:
      - 2
      - 0
    .max_flat_workgroup_size: 200
    .name:           fft_rtc_back_len100_factors_10_10_wgs_200_tpt_10_halfLds_dim1_sp_op_CI_CI_unitstride_sbrr_R2C_dirReg
    .private_segment_fixed_size: 0
    .sgpr_count:     18
    .sgpr_spill_count: 0
    .symbol:         fft_rtc_back_len100_factors_10_10_wgs_200_tpt_10_halfLds_dim1_sp_op_CI_CI_unitstride_sbrr_R2C_dirReg.kd
    .uniform_work_group_size: 1
    .uses_dynamic_stack: false
    .vgpr_count:     57
    .vgpr_spill_count: 0
    .wavefront_size: 64
amdhsa.target:   amdgcn-amd-amdhsa--gfx906
amdhsa.version:
  - 1
  - 2
...

	.end_amdgpu_metadata
